;; amdgpu-corpus repo=ROCm/rocFFT kind=compiled arch=gfx950 opt=O3
	.text
	.amdgcn_target "amdgcn-amd-amdhsa--gfx950"
	.amdhsa_code_object_version 6
	.protected	fft_rtc_back_len216_factors_6_6_6_wgs_252_tpt_36_halfLds_dp_op_CI_CI_unitstride_sbrr_C2R_dirReg ; -- Begin function fft_rtc_back_len216_factors_6_6_6_wgs_252_tpt_36_halfLds_dp_op_CI_CI_unitstride_sbrr_C2R_dirReg
	.globl	fft_rtc_back_len216_factors_6_6_6_wgs_252_tpt_36_halfLds_dp_op_CI_CI_unitstride_sbrr_C2R_dirReg
	.p2align	8
	.type	fft_rtc_back_len216_factors_6_6_6_wgs_252_tpt_36_halfLds_dp_op_CI_CI_unitstride_sbrr_C2R_dirReg,@function
fft_rtc_back_len216_factors_6_6_6_wgs_252_tpt_36_halfLds_dp_op_CI_CI_unitstride_sbrr_C2R_dirReg: ; @fft_rtc_back_len216_factors_6_6_6_wgs_252_tpt_36_halfLds_dp_op_CI_CI_unitstride_sbrr_C2R_dirReg
; %bb.0:
	s_load_dwordx4 s[4:7], s[0:1], 0x58
	s_load_dwordx4 s[8:11], s[0:1], 0x0
	;; [unrolled: 1-line block ×3, first 2 shown]
	v_mul_u32_u24_e32 v1, 0x71d, v0
	v_lshrrev_b32_e32 v2, 16, v1
	v_mad_u64_u32 v[8:9], s[2:3], s2, 7, v[2:3]
	v_mov_b32_e32 v10, 0
	v_mov_b32_e32 v9, v10
	s_waitcnt lgkmcnt(0)
	v_cmp_lt_u64_e64 s[2:3], s[10:11], 2
	v_mov_b64_e32 v[2:3], 0
	s_and_b64 vcc, exec, s[2:3]
	v_mov_b64_e32 v[4:5], v[2:3]
	v_mov_b64_e32 v[6:7], v[8:9]
	s_cbranch_vccnz .LBB0_8
; %bb.1:
	s_load_dwordx2 s[2:3], s[0:1], 0x10
	s_add_u32 s16, s14, 8
	s_addc_u32 s17, s15, 0
	s_add_u32 s18, s12, 8
	s_addc_u32 s19, s13, 0
	s_waitcnt lgkmcnt(0)
	s_add_u32 s20, s2, 8
	v_mov_b64_e32 v[2:3], 0
	s_addc_u32 s21, s3, 0
	s_mov_b64 s[22:23], 1
	v_mov_b64_e32 v[4:5], v[2:3]
	v_mov_b64_e32 v[12:13], v[8:9]
.LBB0_2:                                ; =>This Inner Loop Header: Depth=1
	s_load_dwordx2 s[24:25], s[20:21], 0x0
                                        ; implicit-def: $vgpr6_vgpr7
	s_waitcnt lgkmcnt(0)
	v_or_b32_e32 v11, s25, v13
	v_cmp_ne_u64_e32 vcc, 0, v[10:11]
	s_and_saveexec_b64 s[2:3], vcc
	s_xor_b64 s[26:27], exec, s[2:3]
	s_cbranch_execz .LBB0_4
; %bb.3:                                ;   in Loop: Header=BB0_2 Depth=1
	v_cvt_f32_u32_e32 v1, s24
	v_cvt_f32_u32_e32 v6, s25
	s_sub_u32 s2, 0, s24
	s_subb_u32 s3, 0, s25
	v_fmac_f32_e32 v1, 0x4f800000, v6
	v_rcp_f32_e32 v1, v1
	s_nop 0
	v_mul_f32_e32 v1, 0x5f7ffffc, v1
	v_mul_f32_e32 v6, 0x2f800000, v1
	v_trunc_f32_e32 v6, v6
	v_fmac_f32_e32 v1, 0xcf800000, v6
	v_cvt_u32_f32_e32 v9, v6
	v_cvt_u32_f32_e32 v1, v1
	v_mul_lo_u32 v6, s2, v9
	v_mul_hi_u32 v11, s2, v1
	v_mul_lo_u32 v7, s3, v1
	v_add_u32_e32 v11, v11, v6
	v_mul_lo_u32 v16, s2, v1
	v_add_u32_e32 v11, v11, v7
	v_mul_hi_u32 v6, v1, v16
	v_mul_hi_u32 v15, v1, v11
	v_mul_lo_u32 v14, v1, v11
	v_mov_b32_e32 v7, v10
	v_lshl_add_u64 v[6:7], v[6:7], 0, v[14:15]
	v_mul_hi_u32 v15, v9, v16
	v_mul_lo_u32 v16, v9, v16
	v_add_co_u32_e32 v6, vcc, v6, v16
	v_mul_hi_u32 v14, v9, v11
	s_nop 0
	v_addc_co_u32_e32 v6, vcc, v7, v15, vcc
	v_mov_b32_e32 v7, v10
	s_nop 0
	v_addc_co_u32_e32 v15, vcc, 0, v14, vcc
	v_mul_lo_u32 v14, v9, v11
	v_lshl_add_u64 v[6:7], v[6:7], 0, v[14:15]
	v_add_co_u32_e32 v1, vcc, v1, v6
	v_mul_lo_u32 v14, s2, v1
	s_nop 0
	v_addc_co_u32_e32 v9, vcc, v9, v7, vcc
	v_mul_lo_u32 v6, s2, v9
	v_mul_hi_u32 v7, s2, v1
	v_add_u32_e32 v6, v7, v6
	v_mul_lo_u32 v7, s3, v1
	v_add_u32_e32 v11, v6, v7
	v_mul_hi_u32 v17, v9, v14
	v_mul_lo_u32 v18, v9, v14
	v_mul_hi_u32 v7, v1, v11
	v_mul_lo_u32 v6, v1, v11
	v_mul_hi_u32 v14, v1, v14
	v_mov_b32_e32 v15, v10
	v_lshl_add_u64 v[6:7], v[14:15], 0, v[6:7]
	v_add_co_u32_e32 v6, vcc, v6, v18
	v_mul_hi_u32 v16, v9, v11
	s_nop 0
	v_addc_co_u32_e32 v6, vcc, v7, v17, vcc
	v_mul_lo_u32 v14, v9, v11
	s_nop 0
	v_addc_co_u32_e32 v15, vcc, 0, v16, vcc
	v_mov_b32_e32 v7, v10
	v_lshl_add_u64 v[6:7], v[6:7], 0, v[14:15]
	v_add_co_u32_e32 v1, vcc, v1, v6
	v_mul_hi_u32 v14, v12, v1
	s_nop 0
	v_addc_co_u32_e32 v9, vcc, v9, v7, vcc
	v_mad_u64_u32 v[6:7], s[2:3], v12, v9, 0
	v_mov_b32_e32 v15, v10
	v_lshl_add_u64 v[6:7], v[14:15], 0, v[6:7]
	v_mad_u64_u32 v[16:17], s[2:3], v13, v1, 0
	v_add_co_u32_e32 v1, vcc, v6, v16
	v_mad_u64_u32 v[14:15], s[2:3], v13, v9, 0
	s_nop 0
	v_addc_co_u32_e32 v6, vcc, v7, v17, vcc
	v_mov_b32_e32 v7, v10
	s_nop 0
	v_addc_co_u32_e32 v15, vcc, 0, v15, vcc
	v_lshl_add_u64 v[6:7], v[6:7], 0, v[14:15]
	v_mul_lo_u32 v1, s25, v6
	v_mul_lo_u32 v9, s24, v7
	v_mad_u64_u32 v[14:15], s[2:3], s24, v6, 0
	v_add3_u32 v1, v15, v9, v1
	v_sub_u32_e32 v9, v13, v1
	v_mov_b32_e32 v11, s25
	v_sub_co_u32_e32 v18, vcc, v12, v14
	v_lshl_add_u64 v[16:17], v[6:7], 0, 1
	s_nop 0
	v_subb_co_u32_e64 v9, s[2:3], v9, v11, vcc
	v_subrev_co_u32_e64 v11, s[2:3], s24, v18
	v_subb_co_u32_e32 v1, vcc, v13, v1, vcc
	s_nop 0
	v_subbrev_co_u32_e64 v9, s[2:3], 0, v9, s[2:3]
	v_cmp_le_u32_e64 s[2:3], s25, v9
	v_cmp_le_u32_e32 vcc, s25, v1
	s_nop 0
	v_cndmask_b32_e64 v14, 0, -1, s[2:3]
	v_cmp_le_u32_e64 s[2:3], s24, v11
	s_nop 1
	v_cndmask_b32_e64 v11, 0, -1, s[2:3]
	v_cmp_eq_u32_e64 s[2:3], s25, v9
	s_nop 1
	v_cndmask_b32_e64 v9, v14, v11, s[2:3]
	v_lshl_add_u64 v[14:15], v[6:7], 0, 2
	v_cmp_ne_u32_e64 s[2:3], 0, v9
	v_cndmask_b32_e64 v11, 0, -1, vcc
	v_cmp_le_u32_e32 vcc, s24, v18
	v_cndmask_b32_e64 v9, v17, v15, s[2:3]
	s_nop 0
	v_cndmask_b32_e64 v15, 0, -1, vcc
	v_cmp_eq_u32_e32 vcc, s25, v1
	s_nop 1
	v_cndmask_b32_e32 v1, v11, v15, vcc
	v_cmp_ne_u32_e32 vcc, 0, v1
	v_cndmask_b32_e64 v1, v16, v14, s[2:3]
	s_nop 0
	v_cndmask_b32_e32 v7, v7, v9, vcc
	v_cndmask_b32_e32 v6, v6, v1, vcc
.LBB0_4:                                ;   in Loop: Header=BB0_2 Depth=1
	s_andn2_saveexec_b64 s[2:3], s[26:27]
	s_cbranch_execz .LBB0_6
; %bb.5:                                ;   in Loop: Header=BB0_2 Depth=1
	v_cvt_f32_u32_e32 v1, s24
	s_sub_i32 s26, 0, s24
	v_rcp_iflag_f32_e32 v1, v1
	s_nop 0
	v_mul_f32_e32 v1, 0x4f7ffffe, v1
	v_cvt_u32_f32_e32 v1, v1
	v_mul_lo_u32 v6, s26, v1
	v_mul_hi_u32 v6, v1, v6
	v_add_u32_e32 v1, v1, v6
	v_mul_hi_u32 v1, v12, v1
	v_mul_lo_u32 v6, v1, s24
	v_sub_u32_e32 v6, v12, v6
	v_add_u32_e32 v7, 1, v1
	v_subrev_u32_e32 v9, s24, v6
	v_cmp_le_u32_e32 vcc, s24, v6
	s_nop 1
	v_cndmask_b32_e32 v6, v6, v9, vcc
	v_cndmask_b32_e32 v1, v1, v7, vcc
	v_add_u32_e32 v7, 1, v1
	v_cmp_le_u32_e32 vcc, s24, v6
	s_nop 1
	v_cndmask_b32_e32 v6, v1, v7, vcc
	v_mov_b32_e32 v7, v10
.LBB0_6:                                ;   in Loop: Header=BB0_2 Depth=1
	s_or_b64 exec, exec, s[2:3]
	v_mad_u64_u32 v[14:15], s[2:3], v6, s24, 0
	s_load_dwordx2 s[2:3], s[18:19], 0x0
	s_add_u32 s22, s22, 1
	v_mul_lo_u32 v1, v7, s24
	v_mul_lo_u32 v9, v6, s25
	s_load_dwordx2 s[24:25], s[16:17], 0x0
	s_addc_u32 s23, s23, 0
	v_add3_u32 v1, v15, v9, v1
	v_sub_co_u32_e32 v9, vcc, v12, v14
	s_add_u32 s16, s16, 8
	s_nop 0
	v_subb_co_u32_e32 v1, vcc, v13, v1, vcc
	s_addc_u32 s17, s17, 0
	s_waitcnt lgkmcnt(0)
	v_mul_lo_u32 v11, s2, v1
	v_mul_lo_u32 v12, s3, v9
	v_mad_u64_u32 v[2:3], s[2:3], s2, v9, v[2:3]
	s_add_u32 s18, s18, 8
	v_add3_u32 v3, v12, v3, v11
	s_addc_u32 s19, s19, 0
	v_mov_b64_e32 v[12:13], s[10:11]
	v_mul_lo_u32 v1, s24, v1
	v_mul_lo_u32 v11, s25, v9
	v_mad_u64_u32 v[4:5], s[2:3], s24, v9, v[4:5]
	s_add_u32 s20, s20, 8
	v_cmp_ge_u64_e32 vcc, s[22:23], v[12:13]
	v_add3_u32 v5, v11, v5, v1
	s_addc_u32 s21, s21, 0
	s_cbranch_vccnz .LBB0_8
; %bb.7:                                ;   in Loop: Header=BB0_2 Depth=1
	v_mov_b64_e32 v[12:13], v[6:7]
	s_branch .LBB0_2
.LBB0_8:
	s_lshl_b64 s[16:17], s[10:11], 3
	s_mov_b32 s10, 0x24924925
	v_mul_hi_u32 v1, v8, s10
	s_load_dwordx2 s[0:1], s[0:1], 0x28
	v_sub_u32_e32 v9, v8, v1
	v_lshrrev_b32_e32 v9, 1, v9
	v_add_u32_e32 v1, v9, v1
	v_lshrrev_b32_e32 v1, 2, v1
	s_add_u32 s2, s14, s16
	v_mul_lo_u32 v1, v1, 7
	s_addc_u32 s3, s15, s17
	v_sub_u32_e32 v1, v8, v1
	s_waitcnt lgkmcnt(0)
	v_cmp_gt_u64_e32 vcc, s[0:1], v[6:7]
	v_cmp_le_u64_e64 s[0:1], s[0:1], v[6:7]
                                        ; implicit-def: $vgpr8
	s_and_saveexec_b64 s[10:11], s[0:1]
	s_xor_b64 s[0:1], exec, s[10:11]
; %bb.9:
	s_mov_b32 s10, 0x71c71c8
	v_mul_hi_u32 v2, v0, s10
	v_mul_u32_u24_e32 v2, 36, v2
	v_sub_u32_e32 v8, v0, v2
                                        ; implicit-def: $vgpr0
                                        ; implicit-def: $vgpr2_vgpr3
; %bb.10:
	s_or_saveexec_b64 s[10:11], s[0:1]
	s_load_dwordx2 s[2:3], s[2:3], 0x0
	v_mul_u32_u24_e32 v9, 0xd9, v1
	v_lshlrev_b32_e32 v18, 4, v9
	s_xor_b64 exec, exec, s[10:11]
	s_cbranch_execz .LBB0_14
; %bb.11:
	s_add_u32 s0, s12, s16
	s_addc_u32 s1, s13, s17
	s_load_dwordx2 s[0:1], s[0:1], 0x0
	s_mov_b32 s12, 0x71c71c8
	s_waitcnt lgkmcnt(0)
	v_mul_lo_u32 v1, s1, v6
	v_mul_lo_u32 v8, s0, v7
	v_mad_u64_u32 v[10:11], s[0:1], s0, v6, 0
	v_add3_u32 v11, v11, v8, v1
	v_mul_hi_u32 v1, v0, s12
	v_mul_u32_u24_e32 v1, 36, v1
	v_sub_u32_e32 v8, v0, v1
	v_lshl_add_u64 v[0:1], v[10:11], 4, s[4:5]
	v_lshl_add_u64 v[0:1], v[2:3], 4, v[0:1]
	v_lshlrev_b32_e32 v2, 4, v8
	v_mov_b32_e32 v3, 0
	v_lshl_add_u64 v[36:37], v[0:1], 0, v[2:3]
	global_load_dwordx4 v[10:13], v[36:37], off
	global_load_dwordx4 v[14:17], v[36:37], off offset:576
	global_load_dwordx4 v[20:23], v[36:37], off offset:1152
	;; [unrolled: 1-line block ×5, first 2 shown]
	v_add3_u32 v2, 0, v18, v2
	v_cmp_eq_u32_e64 s[0:1], 35, v8
	s_waitcnt vmcnt(5)
	ds_write_b128 v2, v[10:13]
	s_waitcnt vmcnt(4)
	ds_write_b128 v2, v[14:17] offset:576
	s_waitcnt vmcnt(3)
	ds_write_b128 v2, v[20:23] offset:1152
	;; [unrolled: 2-line block ×5, first 2 shown]
	s_and_saveexec_b64 s[4:5], s[0:1]
	s_cbranch_execz .LBB0_13
; %bb.12:
	global_load_dwordx4 v[10:13], v[0:1], off offset:3456
	v_mov_b32_e32 v8, 35
	s_waitcnt vmcnt(0)
	ds_write_b128 v2, v[10:13] offset:2896
.LBB0_13:
	s_or_b64 exec, exec, s[4:5]
.LBB0_14:
	s_or_b64 exec, exec, s[10:11]
	v_lshl_add_u32 v16, v9, 4, 0
	v_lshlrev_b32_e32 v20, 4, v8
	v_add_u32_e32 v17, v16, v20
	s_waitcnt lgkmcnt(0)
	s_barrier
	v_sub_u32_e32 v19, v16, v20
	ds_read_b64 v[12:13], v17
	ds_read_b64 v[14:15], v19 offset:3456
	v_cmp_ne_u32_e64 s[0:1], 0, v8
                                        ; implicit-def: $vgpr10_vgpr11
	s_waitcnt lgkmcnt(0)
	v_add_f64 v[0:1], v[12:13], v[14:15]
	v_add_f64 v[2:3], v[12:13], -v[14:15]
	s_and_saveexec_b64 s[4:5], s[0:1]
	s_xor_b64 s[0:1], exec, s[4:5]
	s_cbranch_execz .LBB0_16
; %bb.15:
	v_mov_b32_e32 v9, 0
	v_lshl_add_u64 v[0:1], v[8:9], 4, s[8:9]
	global_load_dwordx4 v[22:25], v[0:1], off offset:3360
	ds_read_b64 v[0:1], v19 offset:3464
	ds_read_b64 v[2:3], v17 offset:8
	v_add_f64 v[10:11], v[12:13], v[14:15]
	v_add_f64 v[14:15], v[12:13], -v[14:15]
	s_waitcnt lgkmcnt(0)
	v_add_f64 v[26:27], v[0:1], v[2:3]
	v_add_f64 v[0:1], v[2:3], -v[0:1]
	s_waitcnt vmcnt(0)
	v_fma_f64 v[28:29], v[14:15], v[24:25], v[10:11]
	v_fma_f64 v[10:11], -v[14:15], v[24:25], v[10:11]
	v_fma_f64 v[12:13], v[26:27], v[24:25], -v[0:1]
	v_fma_f64 v[2:3], v[26:27], v[24:25], v[0:1]
	v_fmac_f64_e32 v[10:11], v[26:27], v[22:23]
	v_fmac_f64_e32 v[12:13], v[14:15], v[22:23]
	v_fma_f64 v[0:1], -v[26:27], v[22:23], v[28:29]
	v_fmac_f64_e32 v[2:3], v[14:15], v[22:23]
	ds_write_b128 v19, v[10:13] offset:3456
	v_mov_b64_e32 v[10:11], v[8:9]
.LBB0_16:
	s_andn2_saveexec_b64 s[0:1], s[0:1]
	s_cbranch_execz .LBB0_18
; %bb.17:
	ds_read_b128 v[10:13], v16 offset:1728
	s_waitcnt lgkmcnt(0)
	v_add_f64 v[10:11], v[10:11], v[10:11]
	v_mul_f64 v[12:13], v[12:13], -2.0
	ds_write_b128 v16, v[10:13] offset:1728
	v_mov_b64_e32 v[10:11], 0
.LBB0_18:
	s_or_b64 exec, exec, s[0:1]
	s_add_u32 s0, s8, 0xd20
	s_addc_u32 s1, s9, 0
	v_lshl_add_u64 v[14:15], v[10:11], 4, s[0:1]
	global_load_dwordx4 v[10:13], v[14:15], off offset:576
	global_load_dwordx4 v[22:25], v[14:15], off offset:1152
	ds_write_b128 v17, v[0:3]
	ds_read_b128 v[26:29], v17 offset:576
	ds_read_b128 v[30:33], v19 offset:2880
	v_add3_u32 v0, 0, v20, v18
	s_mov_b32 s4, 0xe8584caa
	s_mov_b32 s5, 0xbfebb67a
	;; [unrolled: 1-line block ×3, first 2 shown]
	s_waitcnt lgkmcnt(0)
	v_add_f64 v[2:3], v[26:27], v[30:31]
	v_add_f64 v[20:21], v[32:33], v[28:29]
	v_add_f64 v[30:31], v[26:27], -v[30:31]
	v_add_f64 v[28:29], v[28:29], -v[32:33]
	s_mov_b32 s0, s4
	s_movk_i32 s10, 0x50
	v_mad_u32_u24 v1, v8, s10, v0
	s_movk_i32 s10, 0xab
	s_waitcnt vmcnt(1)
	v_fma_f64 v[32:33], v[30:31], v[12:13], v[2:3]
	v_fma_f64 v[14:15], v[20:21], v[12:13], v[28:29]
	v_fma_f64 v[26:27], -v[30:31], v[12:13], v[2:3]
	v_fma_f64 v[28:29], v[20:21], v[12:13], -v[28:29]
	v_fma_f64 v[12:13], -v[20:21], v[10:11], v[32:33]
	v_fmac_f64_e32 v[14:15], v[30:31], v[10:11]
	v_fmac_f64_e32 v[26:27], v[20:21], v[10:11]
	;; [unrolled: 1-line block ×3, first 2 shown]
	ds_write_b128 v17, v[12:15] offset:576
	ds_write_b128 v19, v[26:29] offset:2880
	ds_read_b128 v[10:13], v17 offset:1152
	ds_read_b128 v[26:29], v19 offset:2304
	s_waitcnt lgkmcnt(0)
	v_add_f64 v[2:3], v[10:11], v[26:27]
	v_add_f64 v[14:15], v[28:29], v[12:13]
	v_add_f64 v[20:21], v[10:11], -v[26:27]
	v_add_f64 v[10:11], v[12:13], -v[28:29]
	s_waitcnt vmcnt(0)
	v_fma_f64 v[30:31], v[20:21], v[24:25], v[2:3]
	v_fma_f64 v[12:13], v[14:15], v[24:25], v[10:11]
	v_fma_f64 v[26:27], -v[20:21], v[24:25], v[2:3]
	v_fma_f64 v[28:29], v[14:15], v[24:25], -v[10:11]
	v_fma_f64 v[10:11], -v[14:15], v[22:23], v[30:31]
	v_fmac_f64_e32 v[12:13], v[20:21], v[22:23]
	v_fmac_f64_e32 v[26:27], v[14:15], v[22:23]
	;; [unrolled: 1-line block ×3, first 2 shown]
	ds_write_b128 v17, v[10:13] offset:1152
	ds_write_b128 v19, v[26:29] offset:2304
	s_waitcnt lgkmcnt(0)
	s_barrier
	s_barrier
	ds_read_b128 v[10:13], v17
	ds_read_b128 v[20:23], v0 offset:576
	ds_read_b128 v[24:27], v0 offset:1152
	;; [unrolled: 1-line block ×5, first 2 shown]
	s_waitcnt lgkmcnt(0)
	v_add_f64 v[2:3], v[10:11], v[24:25]
	v_add_f64 v[50:51], v[22:23], v[30:31]
	;; [unrolled: 1-line block ×3, first 2 shown]
	v_add_f64 v[48:49], v[30:31], -v[38:39]
	v_add_f64 v[30:31], v[30:31], v[38:39]
	v_add_f64 v[40:41], v[26:27], -v[34:35]
	v_add_f64 v[42:43], v[12:13], v[26:27]
	v_add_f64 v[26:27], v[26:27], v[34:35]
	;; [unrolled: 1-line block ×4, first 2 shown]
	v_add_f64 v[28:29], v[28:29], -v[36:37]
	v_fmac_f64_e32 v[22:23], -0.5, v[30:31]
	v_add_f64 v[24:25], v[24:25], -v[32:33]
	v_add_f64 v[2:3], v[2:3], v[32:33]
	v_fmac_f64_e32 v[10:11], -0.5, v[14:15]
	v_add_f64 v[14:15], v[42:43], v[34:35]
	v_fmac_f64_e32 v[12:13], -0.5, v[26:27]
	;; [unrolled: 2-line block ×3, first 2 shown]
	v_add_f64 v[34:35], v[50:51], v[38:39]
	v_fma_f64 v[42:43], s[0:1], v[28:29], v[22:23]
	v_fmac_f64_e32 v[22:23], s[4:5], v[28:29]
	v_fma_f64 v[36:37], s[4:5], v[40:41], v[10:11]
	v_fmac_f64_e32 v[10:11], s[0:1], v[40:41]
	;; [unrolled: 2-line block ×4, first 2 shown]
	v_add_f64 v[24:25], v[2:3], v[32:33]
	v_add_f64 v[26:27], v[14:15], v[34:35]
	v_add_f64 v[28:29], v[2:3], -v[32:33]
	v_add_f64 v[30:31], v[14:15], -v[34:35]
	v_mul_f64 v[2:3], v[42:43], s[4:5]
	v_mul_f64 v[14:15], v[22:23], s[4:5]
	v_mul_f64 v[42:43], v[42:43], 0.5
	v_mul_f64 v[44:45], v[22:23], -0.5
	v_fmac_f64_e32 v[2:3], 0.5, v[40:41]
	v_fmac_f64_e32 v[14:15], -0.5, v[20:21]
	v_fmac_f64_e32 v[42:43], s[0:1], v[40:41]
	v_fmac_f64_e32 v[44:45], s[0:1], v[20:21]
	s_barrier
	v_add_f64 v[20:21], v[36:37], v[2:3]
	v_add_f64 v[32:33], v[10:11], v[14:15]
	;; [unrolled: 1-line block ×4, first 2 shown]
	v_add_f64 v[36:37], v[36:37], -v[2:3]
	v_add_f64 v[10:11], v[10:11], -v[14:15]
	;; [unrolled: 1-line block ×4, first 2 shown]
	ds_write_b128 v1, v[24:27]
	ds_write_b128 v1, v[20:23] offset:16
	ds_write_b128 v1, v[32:35] offset:32
	;; [unrolled: 1-line block ×5, first 2 shown]
	v_mul_lo_u16_sdwa v1, v8, s10 dst_sel:DWORD dst_unused:UNUSED_PAD src0_sel:BYTE_0 src1_sel:DWORD
	v_lshrrev_b16_e32 v1, 10, v1
	v_mul_lo_u16_e32 v2, 6, v1
	v_sub_u16_e32 v9, v8, v2
	v_mov_b32_e32 v2, 5
	v_mul_u32_u24_sdwa v2, v9, v2 dst_sel:DWORD dst_unused:UNUSED_PAD src0_sel:BYTE_0 src1_sel:DWORD
	v_lshlrev_b32_e32 v2, 4, v2
	s_waitcnt lgkmcnt(0)
	s_barrier
	global_load_dwordx4 v[10:13], v2, s[8:9]
	global_load_dwordx4 v[20:23], v2, s[8:9] offset:16
	global_load_dwordx4 v[24:27], v2, s[8:9] offset:32
	;; [unrolled: 1-line block ×4, first 2 shown]
	ds_read_b128 v[36:39], v17
	ds_read_b128 v[40:43], v0 offset:576
	ds_read_b128 v[44:47], v0 offset:1152
	;; [unrolled: 1-line block ×5, first 2 shown]
	s_movk_i32 s10, 0x240
	v_mad_u32_u24 v1, v1, s10, 0
	s_waitcnt lgkmcnt(0)
	s_barrier
	s_waitcnt vmcnt(4)
	v_mul_f64 v[2:3], v[42:43], v[12:13]
	v_mul_f64 v[12:13], v[40:41], v[12:13]
	s_waitcnt vmcnt(3)
	v_mul_f64 v[14:15], v[46:47], v[22:23]
	v_mul_f64 v[22:23], v[44:45], v[22:23]
	v_fmac_f64_e32 v[2:3], v[40:41], v[10:11]
	v_fma_f64 v[40:41], v[42:43], v[10:11], -v[12:13]
	s_waitcnt vmcnt(2)
	v_mul_f64 v[10:11], v[50:51], v[26:27]
	v_mul_f64 v[12:13], v[48:49], v[26:27]
	s_waitcnt vmcnt(1)
	v_mul_f64 v[26:27], v[54:55], v[30:31]
	v_mul_f64 v[30:31], v[52:53], v[30:31]
	v_fmac_f64_e32 v[14:15], v[44:45], v[20:21]
	v_fma_f64 v[20:21], v[46:47], v[20:21], -v[22:23]
	s_waitcnt vmcnt(0)
	v_mul_f64 v[22:23], v[58:59], v[34:35]
	v_mul_f64 v[34:35], v[56:57], v[34:35]
	v_fmac_f64_e32 v[10:11], v[48:49], v[24:25]
	v_fma_f64 v[12:13], v[50:51], v[24:25], -v[12:13]
	v_fmac_f64_e32 v[26:27], v[52:53], v[28:29]
	v_fma_f64 v[24:25], v[54:55], v[28:29], -v[30:31]
	v_fma_f64 v[28:29], v[58:59], v[32:33], -v[34:35]
	v_fmac_f64_e32 v[22:23], v[56:57], v[32:33]
	v_add_f64 v[48:49], v[12:13], -v[28:29]
	v_add_f64 v[50:51], v[40:41], v[12:13]
	v_add_f64 v[12:13], v[12:13], v[28:29]
	;; [unrolled: 1-line block ×3, first 2 shown]
	v_add_f64 v[34:35], v[20:21], -v[24:25]
	v_add_f64 v[42:43], v[38:39], v[20:21]
	v_add_f64 v[20:21], v[20:21], v[24:25]
	;; [unrolled: 1-line block ×4, first 2 shown]
	v_add_f64 v[10:11], v[10:11], -v[22:23]
	v_fmac_f64_e32 v[40:41], -0.5, v[12:13]
	v_add_f64 v[30:31], v[36:37], v[14:15]
	v_add_f64 v[14:15], v[14:15], -v[26:27]
	v_fmac_f64_e32 v[36:37], -0.5, v[32:33]
	v_fmac_f64_e32 v[38:39], -0.5, v[20:21]
	;; [unrolled: 1-line block ×3, first 2 shown]
	v_fma_f64 v[20:21], s[0:1], v[10:11], v[40:41]
	v_fma_f64 v[46:47], s[4:5], v[34:35], v[36:37]
	v_fmac_f64_e32 v[36:37], s[0:1], v[34:35]
	v_fma_f64 v[34:35], s[0:1], v[14:15], v[38:39]
	v_fmac_f64_e32 v[38:39], s[4:5], v[14:15]
	;; [unrolled: 2-line block ×3, first 2 shown]
	v_fmac_f64_e32 v[40:41], s[4:5], v[10:11]
	v_mul_f64 v[48:49], v[20:21], s[4:5]
	v_mul_f64 v[52:53], v[20:21], 0.5
	v_add_f64 v[32:33], v[44:45], v[22:23]
	v_add_f64 v[44:45], v[50:51], v[28:29]
	v_mul_f64 v[50:51], v[40:41], s[4:5]
	v_fmac_f64_e32 v[48:49], 0.5, v[14:15]
	v_fmac_f64_e32 v[52:53], s[0:1], v[14:15]
	v_mul_f64 v[14:15], v[40:41], -0.5
	v_fmac_f64_e32 v[50:51], -0.5, v[2:3]
	v_fmac_f64_e32 v[14:15], s[0:1], v[2:3]
	v_mov_b32_e32 v2, 4
	v_add_f64 v[30:31], v[30:31], v[26:27]
	v_add_f64 v[42:43], v[42:43], v[24:25]
	v_lshlrev_b32_sdwa v2, v2, v9 dst_sel:DWORD dst_unused:UNUSED_PAD src0_sel:DWORD src1_sel:BYTE_0
	v_add_f64 v[10:11], v[30:31], v[32:33]
	v_add_f64 v[12:13], v[42:43], v[44:45]
	v_add3_u32 v1, v1, v2, v18
	v_add_f64 v[20:21], v[46:47], v[48:49]
	v_add_f64 v[24:25], v[36:37], v[50:51]
	;; [unrolled: 1-line block ×4, first 2 shown]
	v_add_f64 v[28:29], v[30:31], -v[32:33]
	v_add_f64 v[32:33], v[46:47], -v[48:49]
	;; [unrolled: 1-line block ×6, first 2 shown]
	ds_write_b128 v1, v[10:13]
	ds_write_b128 v1, v[20:23] offset:96
	ds_write_b128 v1, v[24:27] offset:192
	;; [unrolled: 1-line block ×5, first 2 shown]
	v_mul_u32_u24_e32 v1, 5, v8
	v_lshlrev_b32_e32 v1, 4, v1
	s_waitcnt lgkmcnt(0)
	s_barrier
	global_load_dwordx4 v[10:13], v1, s[8:9] offset:480
	global_load_dwordx4 v[18:21], v1, s[8:9] offset:496
	;; [unrolled: 1-line block ×5, first 2 shown]
	ds_read_b128 v[34:37], v17
	ds_read_b128 v[38:41], v0 offset:576
	ds_read_b128 v[42:45], v0 offset:1152
	;; [unrolled: 1-line block ×5, first 2 shown]
	s_waitcnt lgkmcnt(0)
	s_barrier
	s_waitcnt vmcnt(4)
	v_mul_f64 v[2:3], v[40:41], v[12:13]
	v_mul_f64 v[12:13], v[38:39], v[12:13]
	s_waitcnt vmcnt(3)
	v_mul_f64 v[14:15], v[44:45], v[20:21]
	v_mul_f64 v[20:21], v[42:43], v[20:21]
	;; [unrolled: 3-line block ×3, first 2 shown]
	v_fmac_f64_e32 v[2:3], v[38:39], v[10:11]
	v_fma_f64 v[38:39], v[40:41], v[10:11], -v[12:13]
	s_waitcnt vmcnt(1)
	v_mul_f64 v[10:11], v[52:53], v[28:29]
	v_mul_f64 v[12:13], v[50:51], v[28:29]
	s_waitcnt vmcnt(0)
	v_mul_f64 v[28:29], v[56:57], v[32:33]
	v_mul_f64 v[32:33], v[54:55], v[32:33]
	v_fmac_f64_e32 v[14:15], v[42:43], v[18:19]
	v_fma_f64 v[18:19], v[44:45], v[18:19], -v[20:21]
	v_fmac_f64_e32 v[58:59], v[46:47], v[22:23]
	v_fma_f64 v[20:21], v[48:49], v[22:23], -v[24:25]
	v_fma_f64 v[22:23], v[56:57], v[30:31], -v[32:33]
	v_fmac_f64_e32 v[10:11], v[50:51], v[26:27]
	v_fma_f64 v[12:13], v[52:53], v[26:27], -v[12:13]
	v_fmac_f64_e32 v[28:29], v[54:55], v[30:31]
	v_add_f64 v[24:25], v[34:35], v[14:15]
	v_add_f64 v[44:45], v[20:21], -v[22:23]
	v_add_f64 v[46:47], v[38:39], v[20:21]
	v_add_f64 v[20:21], v[20:21], v[22:23]
	;; [unrolled: 1-line block ×3, first 2 shown]
	v_add_f64 v[30:31], v[18:19], -v[12:13]
	v_add_f64 v[32:33], v[36:37], v[18:19]
	v_add_f64 v[18:19], v[18:19], v[12:13]
	v_add_f64 v[14:15], v[14:15], -v[10:11]
	v_add_f64 v[42:43], v[58:59], v[28:29]
	v_add_f64 v[48:49], v[24:25], v[10:11]
	v_fmac_f64_e32 v[38:39], -0.5, v[20:21]
	v_add_f64 v[10:11], v[58:59], -v[28:29]
	v_add_f64 v[40:41], v[2:3], v[58:59]
	v_fmac_f64_e32 v[36:37], -0.5, v[18:19]
	v_fmac_f64_e32 v[2:3], -0.5, v[42:43]
	v_fma_f64 v[20:21], s[0:1], v[10:11], v[38:39]
	v_fmac_f64_e32 v[34:35], -0.5, v[26:27]
	v_add_f64 v[26:27], v[40:41], v[28:29]
	v_add_f64 v[40:41], v[46:47], v[22:23]
	v_fma_f64 v[46:47], s[0:1], v[14:15], v[36:37]
	v_fmac_f64_e32 v[36:37], s[4:5], v[14:15]
	v_fma_f64 v[14:15], s[4:5], v[44:45], v[2:3]
	v_fmac_f64_e32 v[38:39], s[4:5], v[10:11]
	v_mul_f64 v[28:29], v[20:21], s[4:5]
	v_mul_f64 v[50:51], v[20:21], 0.5
	v_add_f64 v[32:33], v[32:33], v[12:13]
	v_fmac_f64_e32 v[2:3], s[0:1], v[44:45]
	v_fmac_f64_e32 v[28:29], 0.5, v[14:15]
	v_mul_f64 v[44:45], v[38:39], s[4:5]
	v_fmac_f64_e32 v[50:51], s[0:1], v[14:15]
	v_mul_f64 v[14:15], v[38:39], -0.5
	v_fma_f64 v[42:43], s[4:5], v[30:31], v[34:35]
	v_fmac_f64_e32 v[34:35], s[0:1], v[30:31]
	v_add_f64 v[10:11], v[48:49], v[26:27]
	v_fmac_f64_e32 v[44:45], -0.5, v[2:3]
	v_add_f64 v[12:13], v[32:33], v[40:41]
	v_fmac_f64_e32 v[14:15], s[0:1], v[2:3]
	v_add_f64 v[18:19], v[42:43], v[28:29]
	v_add_f64 v[22:23], v[34:35], v[44:45]
	;; [unrolled: 1-line block ×4, first 2 shown]
	v_add_f64 v[26:27], v[48:49], -v[26:27]
	v_add_f64 v[30:31], v[42:43], -v[28:29]
	;; [unrolled: 1-line block ×6, first 2 shown]
	ds_write_b128 v0, v[10:13]
	ds_write_b128 v0, v[18:21] offset:576
	ds_write_b128 v0, v[22:25] offset:1152
	ds_write_b128 v0, v[26:29] offset:1728
	ds_write_b128 v0, v[30:33] offset:2304
	ds_write_b128 v0, v[34:37] offset:2880
	s_waitcnt lgkmcnt(0)
	s_barrier
	s_and_saveexec_b64 s[0:1], vcc
	s_cbranch_execz .LBB0_20
; %bb.19:
	v_mul_lo_u32 v0, s3, v6
	v_mul_lo_u32 v1, s2, v7
	v_mad_u64_u32 v[6:7], s[0:1], s2, v6, 0
	v_lshl_add_u32 v14, v8, 4, v16
	v_add3_u32 v7, v7, v1, v0
	ds_read_b128 v[0:3], v14
	v_lshl_add_u64 v[6:7], v[6:7], 4, s[6:7]
	v_lshl_add_u64 v[10:11], v[4:5], 4, v[6:7]
	ds_read_b128 v[4:7], v14 offset:576
	v_mov_b32_e32 v9, 0
	v_lshl_add_u64 v[12:13], v[8:9], 4, v[10:11]
	s_waitcnt lgkmcnt(1)
	global_store_dwordx4 v[12:13], v[0:3], off
	s_nop 1
	v_add_u32_e32 v0, 36, v8
	v_mov_b32_e32 v1, v9
	v_lshl_add_u64 v[0:1], v[0:1], 4, v[10:11]
	s_waitcnt lgkmcnt(0)
	global_store_dwordx4 v[0:1], v[4:7], off
	ds_read_b128 v[0:3], v14 offset:1152
	s_nop 0
	v_add_u32_e32 v4, 0x48, v8
	v_mov_b32_e32 v5, v9
	v_lshl_add_u64 v[12:13], v[4:5], 4, v[10:11]
	ds_read_b128 v[4:7], v14 offset:1728
	s_waitcnt lgkmcnt(1)
	global_store_dwordx4 v[12:13], v[0:3], off
	v_add_u32_e32 v12, 0x90, v8
	v_mov_b32_e32 v13, v9
	v_add_u32_e32 v0, 0x6c, v8
	v_mov_b32_e32 v1, v9
	v_lshl_add_u64 v[0:1], v[0:1], 4, v[10:11]
	s_waitcnt lgkmcnt(0)
	global_store_dwordx4 v[0:1], v[4:7], off
	ds_read_b128 v[0:3], v14 offset:2304
	ds_read_b128 v[4:7], v14 offset:2880
	v_lshl_add_u64 v[12:13], v[12:13], 4, v[10:11]
	v_add_u32_e32 v8, 0xb4, v8
	s_waitcnt lgkmcnt(1)
	global_store_dwordx4 v[12:13], v[0:3], off
	s_nop 1
	v_lshl_add_u64 v[0:1], v[8:9], 4, v[10:11]
	s_waitcnt lgkmcnt(0)
	global_store_dwordx4 v[0:1], v[4:7], off
.LBB0_20:
	s_endpgm
	.section	.rodata,"a",@progbits
	.p2align	6, 0x0
	.amdhsa_kernel fft_rtc_back_len216_factors_6_6_6_wgs_252_tpt_36_halfLds_dp_op_CI_CI_unitstride_sbrr_C2R_dirReg
		.amdhsa_group_segment_fixed_size 0
		.amdhsa_private_segment_fixed_size 0
		.amdhsa_kernarg_size 104
		.amdhsa_user_sgpr_count 2
		.amdhsa_user_sgpr_dispatch_ptr 0
		.amdhsa_user_sgpr_queue_ptr 0
		.amdhsa_user_sgpr_kernarg_segment_ptr 1
		.amdhsa_user_sgpr_dispatch_id 0
		.amdhsa_user_sgpr_kernarg_preload_length 0
		.amdhsa_user_sgpr_kernarg_preload_offset 0
		.amdhsa_user_sgpr_private_segment_size 0
		.amdhsa_uses_dynamic_stack 0
		.amdhsa_enable_private_segment 0
		.amdhsa_system_sgpr_workgroup_id_x 1
		.amdhsa_system_sgpr_workgroup_id_y 0
		.amdhsa_system_sgpr_workgroup_id_z 0
		.amdhsa_system_sgpr_workgroup_info 0
		.amdhsa_system_vgpr_workitem_id 0
		.amdhsa_next_free_vgpr 60
		.amdhsa_next_free_sgpr 28
		.amdhsa_accum_offset 60
		.amdhsa_reserve_vcc 1
		.amdhsa_float_round_mode_32 0
		.amdhsa_float_round_mode_16_64 0
		.amdhsa_float_denorm_mode_32 3
		.amdhsa_float_denorm_mode_16_64 3
		.amdhsa_dx10_clamp 1
		.amdhsa_ieee_mode 1
		.amdhsa_fp16_overflow 0
		.amdhsa_tg_split 0
		.amdhsa_exception_fp_ieee_invalid_op 0
		.amdhsa_exception_fp_denorm_src 0
		.amdhsa_exception_fp_ieee_div_zero 0
		.amdhsa_exception_fp_ieee_overflow 0
		.amdhsa_exception_fp_ieee_underflow 0
		.amdhsa_exception_fp_ieee_inexact 0
		.amdhsa_exception_int_div_zero 0
	.end_amdhsa_kernel
	.text
.Lfunc_end0:
	.size	fft_rtc_back_len216_factors_6_6_6_wgs_252_tpt_36_halfLds_dp_op_CI_CI_unitstride_sbrr_C2R_dirReg, .Lfunc_end0-fft_rtc_back_len216_factors_6_6_6_wgs_252_tpt_36_halfLds_dp_op_CI_CI_unitstride_sbrr_C2R_dirReg
                                        ; -- End function
	.section	.AMDGPU.csdata,"",@progbits
; Kernel info:
; codeLenInByte = 4340
; NumSgprs: 34
; NumVgprs: 60
; NumAgprs: 0
; TotalNumVgprs: 60
; ScratchSize: 0
; MemoryBound: 0
; FloatMode: 240
; IeeeMode: 1
; LDSByteSize: 0 bytes/workgroup (compile time only)
; SGPRBlocks: 4
; VGPRBlocks: 7
; NumSGPRsForWavesPerEU: 34
; NumVGPRsForWavesPerEU: 60
; AccumOffset: 60
; Occupancy: 8
; WaveLimiterHint : 1
; COMPUTE_PGM_RSRC2:SCRATCH_EN: 0
; COMPUTE_PGM_RSRC2:USER_SGPR: 2
; COMPUTE_PGM_RSRC2:TRAP_HANDLER: 0
; COMPUTE_PGM_RSRC2:TGID_X_EN: 1
; COMPUTE_PGM_RSRC2:TGID_Y_EN: 0
; COMPUTE_PGM_RSRC2:TGID_Z_EN: 0
; COMPUTE_PGM_RSRC2:TIDIG_COMP_CNT: 0
; COMPUTE_PGM_RSRC3_GFX90A:ACCUM_OFFSET: 14
; COMPUTE_PGM_RSRC3_GFX90A:TG_SPLIT: 0
	.text
	.p2alignl 6, 3212836864
	.fill 256, 4, 3212836864
	.type	__hip_cuid_145db26caf0438f8,@object ; @__hip_cuid_145db26caf0438f8
	.section	.bss,"aw",@nobits
	.globl	__hip_cuid_145db26caf0438f8
__hip_cuid_145db26caf0438f8:
	.byte	0                               ; 0x0
	.size	__hip_cuid_145db26caf0438f8, 1

	.ident	"AMD clang version 19.0.0git (https://github.com/RadeonOpenCompute/llvm-project roc-6.4.0 25133 c7fe45cf4b819c5991fe208aaa96edf142730f1d)"
	.section	".note.GNU-stack","",@progbits
	.addrsig
	.addrsig_sym __hip_cuid_145db26caf0438f8
	.amdgpu_metadata
---
amdhsa.kernels:
  - .agpr_count:     0
    .args:
      - .actual_access:  read_only
        .address_space:  global
        .offset:         0
        .size:           8
        .value_kind:     global_buffer
      - .offset:         8
        .size:           8
        .value_kind:     by_value
      - .actual_access:  read_only
        .address_space:  global
        .offset:         16
        .size:           8
        .value_kind:     global_buffer
      - .actual_access:  read_only
        .address_space:  global
        .offset:         24
        .size:           8
        .value_kind:     global_buffer
      - .actual_access:  read_only
        .address_space:  global
        .offset:         32
        .size:           8
        .value_kind:     global_buffer
      - .offset:         40
        .size:           8
        .value_kind:     by_value
      - .actual_access:  read_only
        .address_space:  global
        .offset:         48
        .size:           8
        .value_kind:     global_buffer
      - .actual_access:  read_only
        .address_space:  global
        .offset:         56
        .size:           8
        .value_kind:     global_buffer
      - .offset:         64
        .size:           4
        .value_kind:     by_value
      - .actual_access:  read_only
        .address_space:  global
        .offset:         72
        .size:           8
        .value_kind:     global_buffer
      - .actual_access:  read_only
        .address_space:  global
        .offset:         80
        .size:           8
        .value_kind:     global_buffer
      - .actual_access:  read_only
        .address_space:  global
        .offset:         88
        .size:           8
        .value_kind:     global_buffer
      - .actual_access:  write_only
        .address_space:  global
        .offset:         96
        .size:           8
        .value_kind:     global_buffer
    .group_segment_fixed_size: 0
    .kernarg_segment_align: 8
    .kernarg_segment_size: 104
    .language:       OpenCL C
    .language_version:
      - 2
      - 0
    .max_flat_workgroup_size: 252
    .name:           fft_rtc_back_len216_factors_6_6_6_wgs_252_tpt_36_halfLds_dp_op_CI_CI_unitstride_sbrr_C2R_dirReg
    .private_segment_fixed_size: 0
    .sgpr_count:     34
    .sgpr_spill_count: 0
    .symbol:         fft_rtc_back_len216_factors_6_6_6_wgs_252_tpt_36_halfLds_dp_op_CI_CI_unitstride_sbrr_C2R_dirReg.kd
    .uniform_work_group_size: 1
    .uses_dynamic_stack: false
    .vgpr_count:     60
    .vgpr_spill_count: 0
    .wavefront_size: 64
amdhsa.target:   amdgcn-amd-amdhsa--gfx950
amdhsa.version:
  - 1
  - 2
...

	.end_amdgpu_metadata
